;; amdgpu-corpus repo=zjin-lcf/HeCBench kind=compiled arch=gfx906 opt=O3
	.amdgcn_target "amdgcn-amd-amdhsa--gfx906"
	.amdhsa_code_object_version 6
	.text
	.protected	_Z20accumulate_log_probsPfPKfPKiii ; -- Begin function _Z20accumulate_log_probsPfPKfPKiii
	.globl	_Z20accumulate_log_probsPfPKfPKiii
	.p2align	8
	.type	_Z20accumulate_log_probsPfPKfPKiii,@function
_Z20accumulate_log_probsPfPKfPKiii:     ; @_Z20accumulate_log_probsPfPKfPKiii
; %bb.0:
	s_load_dwordx2 s[0:1], s[4:5], 0x10
	s_ashr_i32 s7, s6, 31
	s_lshl_b64 s[8:9], s[6:7], 2
	v_mov_b32_e32 v3, 0
	s_waitcnt lgkmcnt(0)
	s_add_u32 s10, s0, s8
	s_addc_u32 s11, s1, s9
	s_load_dword s7, s[10:11], 0x0
	s_load_dwordx4 s[0:3], s[4:5], 0x0
	s_waitcnt lgkmcnt(0)
	s_add_i32 s7, s7, -1
	v_cmp_gt_i32_e32 vcc, s7, v0
	s_and_saveexec_b64 s[10:11], vcc
	s_cbranch_execz .LBB0_4
; %bb.1:
	s_load_dword s14, s[4:5], 0x18
	s_load_dword s16, s[4:5], 0x2c
	v_mov_b32_e32 v3, 0
	s_mov_b64 s[12:13], 0
	v_mov_b32_e32 v1, v0
	s_waitcnt lgkmcnt(0)
	s_add_i32 s14, s14, -1
	s_mul_i32 s14, s14, s6
	s_ashr_i32 s15, s14, 31
	s_lshl_b64 s[14:15], s[14:15], 2
	s_add_u32 s2, s2, s14
	s_addc_u32 s6, s3, s15
	s_and_b32 s3, s16, 0xffff
	v_mov_b32_e32 v4, s6
.LBB0_2:                                ; =>This Inner Loop Header: Depth=1
	v_ashrrev_i32_e32 v2, 31, v1
	v_lshlrev_b64 v[5:6], 2, v[1:2]
	v_add_u32_e32 v1, s3, v1
	v_add_co_u32_e32 v5, vcc, s2, v5
	v_addc_co_u32_e32 v6, vcc, v4, v6, vcc
	global_load_dword v2, v[5:6], off
	v_cmp_le_i32_e32 vcc, s7, v1
	s_or_b64 s[12:13], vcc, s[12:13]
	s_waitcnt vmcnt(0)
	v_add_f32_e32 v3, v3, v2
	s_andn2_b64 exec, exec, s[12:13]
	s_cbranch_execnz .LBB0_2
; %bb.3:
	s_or_b64 exec, exec, s[12:13]
.LBB0_4:
	s_or_b64 exec, exec, s[10:11]
	v_mbcnt_lo_u32_b32 v1, -1, 0
	v_mbcnt_hi_u32_b32 v5, -1, v1
	v_and_b32_e32 v1, 0x60, v5
	v_add_u32_e32 v6, 32, v1
	v_xor_b32_e32 v1, 16, v5
	v_cmp_lt_i32_e32 vcc, v1, v6
	v_cndmask_b32_e32 v1, v5, v1, vcc
	v_lshlrev_b32_e32 v1, 2, v1
	ds_bpermute_b32 v2, v1, v3
	v_xor_b32_e32 v4, 8, v5
	v_cmp_lt_i32_e32 vcc, v4, v6
	v_xor_b32_e32 v7, 4, v5
	v_xor_b32_e32 v8, 2, v5
	s_waitcnt lgkmcnt(0)
	v_add_f32_e32 v3, v3, v2
	v_cndmask_b32_e32 v2, v5, v4, vcc
	v_lshlrev_b32_e32 v2, 2, v2
	ds_bpermute_b32 v4, v2, v3
	v_cmp_lt_i32_e32 vcc, v7, v6
	v_xor_b32_e32 v9, 1, v5
	s_waitcnt lgkmcnt(0)
	v_add_f32_e32 v4, v3, v4
	v_cndmask_b32_e32 v3, v5, v7, vcc
	v_lshlrev_b32_e32 v3, 2, v3
	ds_bpermute_b32 v7, v3, v4
	v_cmp_lt_i32_e32 vcc, v8, v6
	s_waitcnt lgkmcnt(0)
	v_add_f32_e32 v7, v4, v7
	v_cndmask_b32_e32 v4, v5, v8, vcc
	v_lshlrev_b32_e32 v4, 2, v4
	ds_bpermute_b32 v8, v4, v7
	v_cmp_lt_i32_e32 vcc, v9, v6
	v_cndmask_b32_e32 v5, v5, v9, vcc
	v_lshlrev_b32_e32 v5, 2, v5
	v_and_b32_e32 v6, 31, v0
	s_waitcnt lgkmcnt(0)
	v_add_f32_e32 v7, v7, v8
	ds_bpermute_b32 v8, v5, v7
	v_cmp_eq_u32_e32 vcc, 0, v6
	s_and_saveexec_b64 s[2:3], vcc
	s_cbranch_execz .LBB0_6
; %bb.5:
	s_waitcnt lgkmcnt(0)
	v_add_f32_e32 v7, v7, v8
	v_lshrrev_b32_e32 v8, 3, v0
	ds_write_b32 v8, v7
.LBB0_6:
	s_or_b64 exec, exec, s[2:3]
	s_waitcnt lgkmcnt(0)
	s_barrier
	s_load_dword s2, s[4:5], 0x2c
	v_cvt_f32_u32_e32 v8, v0
	s_waitcnt lgkmcnt(0)
	s_and_b32 s2, s2, 0xffff
	v_cvt_f32_u32_e32 v7, s2
	v_mul_f32_e32 v7, 0x3d000000, v7
	v_cmp_gt_f32_e32 vcc, v7, v8
	v_mov_b32_e32 v7, 0
	s_and_saveexec_b64 s[2:3], vcc
; %bb.7:
	v_lshlrev_b32_e32 v6, 2, v6
	ds_read_b32 v7, v6
; %bb.8:
	s_or_b64 exec, exec, s[2:3]
	s_waitcnt lgkmcnt(0)
	ds_bpermute_b32 v1, v1, v7
	v_cmp_eq_u32_e32 vcc, 0, v0
	s_waitcnt lgkmcnt(0)
	v_add_f32_e32 v1, v7, v1
	ds_bpermute_b32 v2, v2, v1
	s_waitcnt lgkmcnt(0)
	v_add_f32_e32 v1, v1, v2
	ds_bpermute_b32 v2, v3, v1
	;; [unrolled: 3-line block ×4, first 2 shown]
	s_and_saveexec_b64 s[2:3], vcc
	s_cbranch_execz .LBB0_10
; %bb.9:
	s_add_u32 s0, s0, s8
	s_addc_u32 s1, s1, s9
	v_mov_b32_e32 v0, 0
	s_waitcnt lgkmcnt(0)
	v_add_f32_e32 v1, v1, v2
	global_store_dword v0, v1, s[0:1]
.LBB0_10:
	s_endpgm
	.section	.rodata,"a",@progbits
	.p2align	6, 0x0
	.amdhsa_kernel _Z20accumulate_log_probsPfPKfPKiii
		.amdhsa_group_segment_fixed_size 128
		.amdhsa_private_segment_fixed_size 0
		.amdhsa_kernarg_size 288
		.amdhsa_user_sgpr_count 6
		.amdhsa_user_sgpr_private_segment_buffer 1
		.amdhsa_user_sgpr_dispatch_ptr 0
		.amdhsa_user_sgpr_queue_ptr 0
		.amdhsa_user_sgpr_kernarg_segment_ptr 1
		.amdhsa_user_sgpr_dispatch_id 0
		.amdhsa_user_sgpr_flat_scratch_init 0
		.amdhsa_user_sgpr_private_segment_size 0
		.amdhsa_uses_dynamic_stack 0
		.amdhsa_system_sgpr_private_segment_wavefront_offset 0
		.amdhsa_system_sgpr_workgroup_id_x 1
		.amdhsa_system_sgpr_workgroup_id_y 0
		.amdhsa_system_sgpr_workgroup_id_z 0
		.amdhsa_system_sgpr_workgroup_info 0
		.amdhsa_system_vgpr_workitem_id 0
		.amdhsa_next_free_vgpr 10
		.amdhsa_next_free_sgpr 17
		.amdhsa_reserve_vcc 1
		.amdhsa_reserve_flat_scratch 0
		.amdhsa_float_round_mode_32 0
		.amdhsa_float_round_mode_16_64 0
		.amdhsa_float_denorm_mode_32 3
		.amdhsa_float_denorm_mode_16_64 3
		.amdhsa_dx10_clamp 1
		.amdhsa_ieee_mode 1
		.amdhsa_fp16_overflow 0
		.amdhsa_exception_fp_ieee_invalid_op 0
		.amdhsa_exception_fp_denorm_src 0
		.amdhsa_exception_fp_ieee_div_zero 0
		.amdhsa_exception_fp_ieee_overflow 0
		.amdhsa_exception_fp_ieee_underflow 0
		.amdhsa_exception_fp_ieee_inexact 0
		.amdhsa_exception_int_div_zero 0
	.end_amdhsa_kernel
	.text
.Lfunc_end0:
	.size	_Z20accumulate_log_probsPfPKfPKiii, .Lfunc_end0-_Z20accumulate_log_probsPfPKfPKiii
                                        ; -- End function
	.set _Z20accumulate_log_probsPfPKfPKiii.num_vgpr, 10
	.set _Z20accumulate_log_probsPfPKfPKiii.num_agpr, 0
	.set _Z20accumulate_log_probsPfPKfPKiii.numbered_sgpr, 17
	.set _Z20accumulate_log_probsPfPKfPKiii.num_named_barrier, 0
	.set _Z20accumulate_log_probsPfPKfPKiii.private_seg_size, 0
	.set _Z20accumulate_log_probsPfPKfPKiii.uses_vcc, 1
	.set _Z20accumulate_log_probsPfPKfPKiii.uses_flat_scratch, 0
	.set _Z20accumulate_log_probsPfPKfPKiii.has_dyn_sized_stack, 0
	.set _Z20accumulate_log_probsPfPKfPKiii.has_recursion, 0
	.set _Z20accumulate_log_probsPfPKfPKiii.has_indirect_call, 0
	.section	.AMDGPU.csdata,"",@progbits
; Kernel info:
; codeLenInByte = 612
; TotalNumSgprs: 21
; NumVgprs: 10
; ScratchSize: 0
; MemoryBound: 0
; FloatMode: 240
; IeeeMode: 1
; LDSByteSize: 128 bytes/workgroup (compile time only)
; SGPRBlocks: 2
; VGPRBlocks: 2
; NumSGPRsForWavesPerEU: 21
; NumVGPRsForWavesPerEU: 10
; Occupancy: 10
; WaveLimiterHint : 0
; COMPUTE_PGM_RSRC2:SCRATCH_EN: 0
; COMPUTE_PGM_RSRC2:USER_SGPR: 6
; COMPUTE_PGM_RSRC2:TRAP_HANDLER: 0
; COMPUTE_PGM_RSRC2:TGID_X_EN: 1
; COMPUTE_PGM_RSRC2:TGID_Y_EN: 0
; COMPUTE_PGM_RSRC2:TGID_Z_EN: 0
; COMPUTE_PGM_RSRC2:TIDIG_COMP_CNT: 0
	.section	.text._Z16log_probs_kernelIfEvPfPKT_PKiS5_iiii,"axG",@progbits,_Z16log_probs_kernelIfEvPfPKT_PKiS5_iiii,comdat
	.protected	_Z16log_probs_kernelIfEvPfPKT_PKiS5_iiii ; -- Begin function _Z16log_probs_kernelIfEvPfPKT_PKiS5_iiii
	.globl	_Z16log_probs_kernelIfEvPfPKT_PKiS5_iiii
	.p2align	8
	.type	_Z16log_probs_kernelIfEvPfPKT_PKiS5_iiii,@function
_Z16log_probs_kernelIfEvPfPKT_PKiS5_iiii: ; @_Z16log_probs_kernelIfEvPfPKT_PKiS5_iiii
; %bb.0:
	s_load_dwordx4 s[8:11], s[4:5], 0x20
	s_waitcnt lgkmcnt(0)
	s_cmp_ge_i32 s7, s9
	s_cbranch_scc1 .LBB1_22
; %bb.1:
	s_load_dwordx8 s[12:19], s[4:5], 0x0
	s_mov_b32 s20, s7
	s_ashr_i32 s21, s7, 31
	s_lshl_b64 s[0:1], s[20:21], 2
	s_waitcnt lgkmcnt(0)
	s_add_u32 s0, s18, s0
	s_addc_u32 s1, s19, s1
	s_load_dword s0, s[0:1], 0x0
	s_waitcnt lgkmcnt(0)
	s_add_i32 s0, s0, -1
	s_cmp_ge_i32 s6, s0
	s_cbranch_scc1 .LBB1_22
; %bb.2:
	s_mul_i32 s21, s8, s20
	s_add_i32 s0, s21, s6
	s_mul_i32 s0, s11, s0
	s_ashr_i32 s1, s0, 31
	s_lshl_b64 s[0:1], s[0:1], 2
	s_add_u32 s7, s14, s0
	s_addc_u32 s11, s15, s1
	v_cmp_gt_i32_e32 vcc, s10, v0
	v_mov_b32_e32 v3, 0xff7fffff
	s_and_saveexec_b64 s[2:3], vcc
	s_cbranch_execz .LBB1_6
; %bb.3:
	s_load_dword s0, s[4:5], 0x3c
	v_mov_b32_e32 v3, 0xff7fffff
	s_mov_b64 s[8:9], 0
	v_mov_b32_e32 v4, s11
	v_mov_b32_e32 v1, v0
	s_waitcnt lgkmcnt(0)
	s_and_b32 s14, s0, 0xffff
.LBB1_4:                                ; =>This Inner Loop Header: Depth=1
	v_ashrrev_i32_e32 v2, 31, v1
	v_lshlrev_b64 v[5:6], 2, v[1:2]
	v_add_u32_e32 v1, s14, v1
	v_add_co_u32_e64 v5, s[0:1], s7, v5
	v_addc_co_u32_e64 v6, s[0:1], v4, v6, s[0:1]
	global_load_dword v2, v[5:6], off
	v_max_f32_e32 v3, v3, v3
	v_cmp_le_i32_e64 s[0:1], s10, v1
	s_or_b64 s[8:9], s[0:1], s[8:9]
	s_waitcnt vmcnt(0)
	v_max_f32_e32 v2, v2, v2
	v_max_f32_e32 v3, v3, v2
	s_andn2_b64 exec, exec, s[8:9]
	s_cbranch_execnz .LBB1_4
; %bb.5:
	s_or_b64 exec, exec, s[8:9]
.LBB1_6:
	s_or_b64 exec, exec, s[2:3]
	v_mbcnt_lo_u32_b32 v1, -1, 0
	v_mbcnt_hi_u32_b32 v1, -1, v1
	v_and_b32_e32 v2, 0x60, v1
	v_add_u32_e32 v6, 32, v2
	v_xor_b32_e32 v2, 16, v1
	v_cmp_lt_i32_e64 s[0:1], v2, v6
	v_cndmask_b32_e64 v2, v1, v2, s[0:1]
	v_lshlrev_b32_e32 v2, 2, v2
	ds_bpermute_b32 v4, v2, v3
	v_xor_b32_e32 v5, 8, v1
	v_max_f32_e32 v3, v3, v3
	v_cmp_lt_i32_e64 s[0:1], v5, v6
	v_xor_b32_e32 v7, 4, v1
	s_waitcnt lgkmcnt(0)
	v_max_f32_e32 v4, v4, v4
	v_max_f32_e32 v4, v3, v4
	v_cndmask_b32_e64 v3, v1, v5, s[0:1]
	v_lshlrev_b32_e32 v3, 2, v3
	ds_bpermute_b32 v5, v3, v4
	v_cmp_lt_i32_e64 s[0:1], v7, v6
	v_xor_b32_e32 v8, 2, v1
	v_xor_b32_e32 v9, 1, v1
	s_waitcnt lgkmcnt(0)
	v_max_f32_e32 v5, v5, v5
	v_max_f32_e32 v5, v4, v5
	v_cndmask_b32_e64 v4, v1, v7, s[0:1]
	v_lshlrev_b32_e32 v4, 2, v4
	ds_bpermute_b32 v7, v4, v5
	v_cmp_lt_i32_e64 s[0:1], v8, v6
	s_waitcnt lgkmcnt(0)
	v_max_f32_e32 v7, v7, v7
	v_max_f32_e32 v7, v5, v7
	v_cndmask_b32_e64 v5, v1, v8, s[0:1]
	v_lshlrev_b32_e32 v5, 2, v5
	ds_bpermute_b32 v8, v5, v7
	v_cmp_lt_i32_e64 s[0:1], v9, v6
	v_cndmask_b32_e64 v1, v1, v9, s[0:1]
	v_lshlrev_b32_e32 v6, 2, v1
	v_and_b32_e32 v1, 31, v0
	s_waitcnt lgkmcnt(0)
	v_max_f32_e32 v8, v8, v8
	v_max_f32_e32 v8, v7, v8
	ds_bpermute_b32 v9, v6, v8
	v_cmp_eq_u32_e64 s[0:1], 0, v1
	v_lshrrev_b32_e32 v7, 3, v0
	s_and_saveexec_b64 s[2:3], s[0:1]
	s_cbranch_execz .LBB1_8
; %bb.7:
	s_waitcnt lgkmcnt(0)
	v_max_f32_e32 v9, v9, v9
	v_max_f32_e32 v8, v8, v8
	;; [unrolled: 1-line block ×3, first 2 shown]
	ds_write_b32 v7, v8
.LBB1_8:
	s_or_b64 exec, exec, s[2:3]
	s_waitcnt lgkmcnt(0)
	s_barrier
	s_load_dword s2, s[4:5], 0x3c
	v_cvt_f32_u32_e32 v10, v0
	v_mov_b32_e32 v9, 0xe0ad78ec
	s_waitcnt lgkmcnt(0)
	s_and_b32 s22, s2, 0xffff
	v_cvt_f32_u32_e32 v8, s22
	v_mul_f32_e32 v8, 0x3d000000, v8
	v_cmp_gt_f32_e64 s[2:3], v8, v10
	v_lshlrev_b32_e32 v8, 2, v1
	s_and_saveexec_b64 s[4:5], s[2:3]
; %bb.9:
	ds_read_b32 v9, v8
; %bb.10:
	s_or_b64 exec, exec, s[4:5]
	s_waitcnt lgkmcnt(0)
	ds_bpermute_b32 v1, v2, v9
	v_max_f32_e32 v9, v9, v9
	v_cmp_eq_u32_e64 s[4:5], 0, v0
	s_waitcnt lgkmcnt(0)
	v_max_f32_e32 v1, v1, v1
	v_max_f32_e32 v1, v9, v1
	ds_bpermute_b32 v9, v3, v1
	s_waitcnt lgkmcnt(0)
	v_max_f32_e32 v9, v9, v9
	v_max_f32_e32 v1, v1, v9
	ds_bpermute_b32 v9, v4, v1
	;; [unrolled: 4-line block ×4, first 2 shown]
	s_and_saveexec_b64 s[8:9], s[4:5]
	s_cbranch_execz .LBB1_12
; %bb.11:
	s_waitcnt lgkmcnt(0)
	v_max_f32_e32 v9, v9, v9
	v_max_f32_e32 v1, v1, v1
	;; [unrolled: 1-line block ×3, first 2 shown]
	v_mov_b32_e32 v9, 0
	ds_write_b32 v9, v1 offset:256
.LBB1_12:
	s_or_b64 exec, exec, s[8:9]
	s_waitcnt lgkmcnt(0)
	v_mov_b32_e32 v9, 0
	s_barrier
	s_and_saveexec_b64 s[14:15], vcc
	s_cbranch_execz .LBB1_16
; %bb.13:
	v_mov_b32_e32 v9, 0
	ds_read_b32 v10, v9 offset:256
	s_mov_b64 s[18:19], 0
	v_mov_b32_e32 v11, s11
	s_mov_b32 s23, 0x3fb8aa3b
	s_mov_b32 s24, 0xc2ce8ed0
	;; [unrolled: 1-line block ×3, first 2 shown]
	v_mov_b32_e32 v12, 0x7f800000
.LBB1_14:                               ; =>This Inner Loop Header: Depth=1
	v_ashrrev_i32_e32 v1, 31, v0
	v_lshlrev_b64 v[13:14], 2, v[0:1]
	v_add_u32_e32 v0, s22, v0
	v_add_co_u32_e32 v13, vcc, s7, v13
	v_addc_co_u32_e32 v14, vcc, v11, v14, vcc
	global_load_dword v1, v[13:14], off
	v_cmp_le_i32_e32 vcc, s10, v0
	s_or_b64 s[18:19], vcc, s[18:19]
	s_waitcnt vmcnt(0) lgkmcnt(0)
	v_sub_f32_e32 v1, v1, v10
	v_mul_f32_e32 v13, 0x3fb8aa3b, v1
	v_fma_f32 v14, v1, s23, -v13
	v_rndne_f32_e32 v15, v13
	v_fmac_f32_e32 v14, 0x32a5705f, v1
	v_sub_f32_e32 v13, v13, v15
	v_add_f32_e32 v13, v13, v14
	v_cvt_i32_f32_e32 v15, v15
	v_exp_f32_e32 v13, v13
	v_cmp_ngt_f32_e64 s[8:9], s24, v1
	v_ldexp_f32 v13, v13, v15
	v_cndmask_b32_e64 v13, 0, v13, s[8:9]
	v_cmp_nlt_f32_e64 s[8:9], s25, v1
	v_cndmask_b32_e64 v1, v12, v13, s[8:9]
	v_add_f32_e32 v9, v9, v1
	s_andn2_b64 exec, exec, s[18:19]
	s_cbranch_execnz .LBB1_14
; %bb.15:
	s_or_b64 exec, exec, s[18:19]
.LBB1_16:
	s_or_b64 exec, exec, s[14:15]
	ds_bpermute_b32 v0, v2, v9
	s_waitcnt lgkmcnt(0)
	v_add_f32_e32 v0, v9, v0
	ds_bpermute_b32 v1, v3, v0
	s_waitcnt lgkmcnt(0)
	v_add_f32_e32 v0, v0, v1
	;; [unrolled: 3-line block ×4, first 2 shown]
	ds_bpermute_b32 v1, v6, v0
	s_and_saveexec_b64 s[8:9], s[0:1]
	s_cbranch_execz .LBB1_18
; %bb.17:
	s_waitcnt lgkmcnt(0)
	v_add_f32_e32 v0, v0, v1
	ds_write_b32 v7, v0 offset:128
.LBB1_18:
	s_or_b64 exec, exec, s[8:9]
	v_mov_b32_e32 v0, 0
	s_waitcnt lgkmcnt(0)
	s_barrier
	s_and_saveexec_b64 s[0:1], s[2:3]
; %bb.19:
	ds_read_b32 v0, v8 offset:128
; %bb.20:
	s_or_b64 exec, exec, s[0:1]
	s_waitcnt lgkmcnt(0)
	ds_bpermute_b32 v1, v2, v0
	s_waitcnt lgkmcnt(0)
	v_add_f32_e32 v0, v0, v1
	ds_bpermute_b32 v1, v3, v0
	s_waitcnt lgkmcnt(0)
	v_add_f32_e32 v0, v0, v1
	;; [unrolled: 3-line block ×4, first 2 shown]
	ds_bpermute_b32 v1, v6, v0
	s_and_saveexec_b64 s[0:1], s[4:5]
	s_cbranch_execz .LBB1_22
; %bb.21:
	s_sub_i32 s0, s21, s20
	s_add_i32 s2, s0, s6
	s_ashr_i32 s1, s21, 31
	s_ashr_i32 s3, s6, 31
	s_add_u32 s0, s6, s21
	s_addc_u32 s1, s3, s1
	s_lshl_b64 s[0:1], s[0:1], 2
	s_add_u32 s0, s16, s0
	s_addc_u32 s1, s17, s1
	s_load_dword s0, s[0:1], 0x4
	s_waitcnt lgkmcnt(0)
	v_add_f32_e32 v0, v0, v1
	v_add_f32_e32 v0, 0x3089705f, v0
	v_mov_b32_e32 v1, 0
	ds_read_b32 v2, v1 offset:256
	s_ashr_i32 s1, s0, 31
	s_lshl_b64 s[0:1], s[0:1], 2
	s_add_u32 s0, s7, s0
	s_addc_u32 s1, s11, s1
	s_load_dword s0, s[0:1], 0x0
	s_mov_b32 s1, 0x800000
	v_cmp_gt_f32_e32 vcc, s1, v0
	v_cndmask_b32_e64 v3, 0, 32, vcc
	v_ldexp_f32 v0, v0, v3
	v_log_f32_e32 v0, v0
	s_waitcnt lgkmcnt(0)
	v_sub_f32_e32 v2, s0, v2
	s_mov_b32 s0, 0x3f317217
	s_ashr_i32 s3, s2, 31
	v_mul_f32_e32 v3, 0x3f317217, v0
	v_fma_f32 v3, v0, s0, -v3
	v_fmac_f32_e32 v3, 0x3377d1cf, v0
	s_mov_b32 s0, 0x7f800000
	v_fmac_f32_e32 v3, 0x3f317217, v0
	v_cmp_lt_f32_e64 s[0:1], |v0|, s0
	v_cndmask_b32_e64 v0, v0, v3, s[0:1]
	v_mov_b32_e32 v3, 0x41b17218
	v_cndmask_b32_e32 v3, 0, v3, vcc
	s_lshl_b64 s[0:1], s[2:3], 2
	v_sub_f32_e32 v0, v0, v3
	s_add_u32 s0, s12, s0
	v_sub_f32_e32 v0, v2, v0
	s_addc_u32 s1, s13, s1
	global_store_dword v1, v0, s[0:1]
.LBB1_22:
	s_endpgm
	.section	.rodata,"a",@progbits
	.p2align	6, 0x0
	.amdhsa_kernel _Z16log_probs_kernelIfEvPfPKT_PKiS5_iiii
		.amdhsa_group_segment_fixed_size 260
		.amdhsa_private_segment_fixed_size 0
		.amdhsa_kernarg_size 304
		.amdhsa_user_sgpr_count 6
		.amdhsa_user_sgpr_private_segment_buffer 1
		.amdhsa_user_sgpr_dispatch_ptr 0
		.amdhsa_user_sgpr_queue_ptr 0
		.amdhsa_user_sgpr_kernarg_segment_ptr 1
		.amdhsa_user_sgpr_dispatch_id 0
		.amdhsa_user_sgpr_flat_scratch_init 0
		.amdhsa_user_sgpr_private_segment_size 0
		.amdhsa_uses_dynamic_stack 0
		.amdhsa_system_sgpr_private_segment_wavefront_offset 0
		.amdhsa_system_sgpr_workgroup_id_x 1
		.amdhsa_system_sgpr_workgroup_id_y 1
		.amdhsa_system_sgpr_workgroup_id_z 0
		.amdhsa_system_sgpr_workgroup_info 0
		.amdhsa_system_vgpr_workitem_id 0
		.amdhsa_next_free_vgpr 16
		.amdhsa_next_free_sgpr 26
		.amdhsa_reserve_vcc 1
		.amdhsa_reserve_flat_scratch 0
		.amdhsa_float_round_mode_32 0
		.amdhsa_float_round_mode_16_64 0
		.amdhsa_float_denorm_mode_32 3
		.amdhsa_float_denorm_mode_16_64 3
		.amdhsa_dx10_clamp 1
		.amdhsa_ieee_mode 1
		.amdhsa_fp16_overflow 0
		.amdhsa_exception_fp_ieee_invalid_op 0
		.amdhsa_exception_fp_denorm_src 0
		.amdhsa_exception_fp_ieee_div_zero 0
		.amdhsa_exception_fp_ieee_overflow 0
		.amdhsa_exception_fp_ieee_underflow 0
		.amdhsa_exception_fp_ieee_inexact 0
		.amdhsa_exception_int_div_zero 0
	.end_amdhsa_kernel
	.section	.text._Z16log_probs_kernelIfEvPfPKT_PKiS5_iiii,"axG",@progbits,_Z16log_probs_kernelIfEvPfPKT_PKiS5_iiii,comdat
.Lfunc_end1:
	.size	_Z16log_probs_kernelIfEvPfPKT_PKiS5_iiii, .Lfunc_end1-_Z16log_probs_kernelIfEvPfPKT_PKiS5_iiii
                                        ; -- End function
	.set _Z16log_probs_kernelIfEvPfPKT_PKiS5_iiii.num_vgpr, 16
	.set _Z16log_probs_kernelIfEvPfPKT_PKiS5_iiii.num_agpr, 0
	.set _Z16log_probs_kernelIfEvPfPKT_PKiS5_iiii.numbered_sgpr, 26
	.set _Z16log_probs_kernelIfEvPfPKT_PKiS5_iiii.num_named_barrier, 0
	.set _Z16log_probs_kernelIfEvPfPKT_PKiS5_iiii.private_seg_size, 0
	.set _Z16log_probs_kernelIfEvPfPKT_PKiS5_iiii.uses_vcc, 1
	.set _Z16log_probs_kernelIfEvPfPKT_PKiS5_iiii.uses_flat_scratch, 0
	.set _Z16log_probs_kernelIfEvPfPKT_PKiS5_iiii.has_dyn_sized_stack, 0
	.set _Z16log_probs_kernelIfEvPfPKT_PKiS5_iiii.has_recursion, 0
	.set _Z16log_probs_kernelIfEvPfPKT_PKiS5_iiii.has_indirect_call, 0
	.section	.AMDGPU.csdata,"",@progbits
; Kernel info:
; codeLenInByte = 1448
; TotalNumSgprs: 30
; NumVgprs: 16
; ScratchSize: 0
; MemoryBound: 0
; FloatMode: 240
; IeeeMode: 1
; LDSByteSize: 260 bytes/workgroup (compile time only)
; SGPRBlocks: 3
; VGPRBlocks: 3
; NumSGPRsForWavesPerEU: 30
; NumVGPRsForWavesPerEU: 16
; Occupancy: 10
; WaveLimiterHint : 1
; COMPUTE_PGM_RSRC2:SCRATCH_EN: 0
; COMPUTE_PGM_RSRC2:USER_SGPR: 6
; COMPUTE_PGM_RSRC2:TRAP_HANDLER: 0
; COMPUTE_PGM_RSRC2:TGID_X_EN: 1
; COMPUTE_PGM_RSRC2:TGID_Y_EN: 1
; COMPUTE_PGM_RSRC2:TGID_Z_EN: 0
; COMPUTE_PGM_RSRC2:TIDIG_COMP_CNT: 0
	.section	.AMDGPU.gpr_maximums,"",@progbits
	.set amdgpu.max_num_vgpr, 0
	.set amdgpu.max_num_agpr, 0
	.set amdgpu.max_num_sgpr, 0
	.section	.AMDGPU.csdata,"",@progbits
	.type	__hip_cuid_1dd27aa0bf668c77,@object ; @__hip_cuid_1dd27aa0bf668c77
	.section	.bss,"aw",@nobits
	.globl	__hip_cuid_1dd27aa0bf668c77
__hip_cuid_1dd27aa0bf668c77:
	.byte	0                               ; 0x0
	.size	__hip_cuid_1dd27aa0bf668c77, 1

	.ident	"AMD clang version 22.0.0git (https://github.com/RadeonOpenCompute/llvm-project roc-7.2.4 26084 f58b06dce1f9c15707c5f808fd002e18c2accf7e)"
	.section	".note.GNU-stack","",@progbits
	.addrsig
	.addrsig_sym __hip_cuid_1dd27aa0bf668c77
	.amdgpu_metadata
---
amdhsa.kernels:
  - .args:
      - .address_space:  global
        .offset:         0
        .size:           8
        .value_kind:     global_buffer
      - .address_space:  global
        .offset:         8
        .size:           8
        .value_kind:     global_buffer
      - .address_space:  global
        .offset:         16
        .size:           8
        .value_kind:     global_buffer
      - .offset:         24
        .size:           4
        .value_kind:     by_value
      - .offset:         28
        .size:           4
        .value_kind:     by_value
      - .offset:         32
        .size:           4
        .value_kind:     hidden_block_count_x
      - .offset:         36
        .size:           4
        .value_kind:     hidden_block_count_y
      - .offset:         40
        .size:           4
        .value_kind:     hidden_block_count_z
      - .offset:         44
        .size:           2
        .value_kind:     hidden_group_size_x
      - .offset:         46
        .size:           2
        .value_kind:     hidden_group_size_y
      - .offset:         48
        .size:           2
        .value_kind:     hidden_group_size_z
      - .offset:         50
        .size:           2
        .value_kind:     hidden_remainder_x
      - .offset:         52
        .size:           2
        .value_kind:     hidden_remainder_y
      - .offset:         54
        .size:           2
        .value_kind:     hidden_remainder_z
      - .offset:         72
        .size:           8
        .value_kind:     hidden_global_offset_x
      - .offset:         80
        .size:           8
        .value_kind:     hidden_global_offset_y
      - .offset:         88
        .size:           8
        .value_kind:     hidden_global_offset_z
      - .offset:         96
        .size:           2
        .value_kind:     hidden_grid_dims
    .group_segment_fixed_size: 128
    .kernarg_segment_align: 8
    .kernarg_segment_size: 288
    .language:       OpenCL C
    .language_version:
      - 2
      - 0
    .max_flat_workgroup_size: 1024
    .name:           _Z20accumulate_log_probsPfPKfPKiii
    .private_segment_fixed_size: 0
    .sgpr_count:     21
    .sgpr_spill_count: 0
    .symbol:         _Z20accumulate_log_probsPfPKfPKiii.kd
    .uniform_work_group_size: 1
    .uses_dynamic_stack: false
    .vgpr_count:     10
    .vgpr_spill_count: 0
    .wavefront_size: 64
  - .args:
      - .address_space:  global
        .offset:         0
        .size:           8
        .value_kind:     global_buffer
      - .address_space:  global
        .offset:         8
        .size:           8
        .value_kind:     global_buffer
      - .address_space:  global
        .offset:         16
        .size:           8
        .value_kind:     global_buffer
      - .address_space:  global
        .offset:         24
        .size:           8
        .value_kind:     global_buffer
      - .offset:         32
        .size:           4
        .value_kind:     by_value
      - .offset:         36
        .size:           4
        .value_kind:     by_value
      - .offset:         40
        .size:           4
        .value_kind:     by_value
      - .offset:         44
        .size:           4
        .value_kind:     by_value
      - .offset:         48
        .size:           4
        .value_kind:     hidden_block_count_x
      - .offset:         52
        .size:           4
        .value_kind:     hidden_block_count_y
      - .offset:         56
        .size:           4
        .value_kind:     hidden_block_count_z
      - .offset:         60
        .size:           2
        .value_kind:     hidden_group_size_x
      - .offset:         62
        .size:           2
        .value_kind:     hidden_group_size_y
      - .offset:         64
        .size:           2
        .value_kind:     hidden_group_size_z
      - .offset:         66
        .size:           2
        .value_kind:     hidden_remainder_x
      - .offset:         68
        .size:           2
        .value_kind:     hidden_remainder_y
      - .offset:         70
        .size:           2
        .value_kind:     hidden_remainder_z
      - .offset:         88
        .size:           8
        .value_kind:     hidden_global_offset_x
      - .offset:         96
        .size:           8
        .value_kind:     hidden_global_offset_y
      - .offset:         104
        .size:           8
        .value_kind:     hidden_global_offset_z
      - .offset:         112
        .size:           2
        .value_kind:     hidden_grid_dims
    .group_segment_fixed_size: 260
    .kernarg_segment_align: 8
    .kernarg_segment_size: 304
    .language:       OpenCL C
    .language_version:
      - 2
      - 0
    .max_flat_workgroup_size: 1024
    .name:           _Z16log_probs_kernelIfEvPfPKT_PKiS5_iiii
    .private_segment_fixed_size: 0
    .sgpr_count:     30
    .sgpr_spill_count: 0
    .symbol:         _Z16log_probs_kernelIfEvPfPKT_PKiS5_iiii.kd
    .uniform_work_group_size: 1
    .uses_dynamic_stack: false
    .vgpr_count:     16
    .vgpr_spill_count: 0
    .wavefront_size: 64
amdhsa.target:   amdgcn-amd-amdhsa--gfx906
amdhsa.version:
  - 1
  - 2
...

	.end_amdgpu_metadata
